;; amdgpu-corpus repo=ROCm/rocFFT kind=compiled arch=gfx1030 opt=O3
	.text
	.amdgcn_target "amdgcn-amd-amdhsa--gfx1030"
	.amdhsa_code_object_version 6
	.protected	bluestein_single_fwd_len154_dim1_sp_op_CI_CI ; -- Begin function bluestein_single_fwd_len154_dim1_sp_op_CI_CI
	.globl	bluestein_single_fwd_len154_dim1_sp_op_CI_CI
	.p2align	8
	.type	bluestein_single_fwd_len154_dim1_sp_op_CI_CI,@function
bluestein_single_fwd_len154_dim1_sp_op_CI_CI: ; @bluestein_single_fwd_len154_dim1_sp_op_CI_CI
; %bb.0:
	s_load_dwordx4 s[0:3], s[4:5], 0x28
	v_mul_u32_u24_e32 v1, 0xba3, v0
	v_lshrrev_b32_e32 v1, 16, v1
	v_mad_u64_u32 v[35:36], null, s6, 5, v[1:2]
	v_mov_b32_e32 v36, 0
	s_waitcnt lgkmcnt(0)
	v_cmp_gt_u64_e32 vcc_lo, s[0:1], v[35:36]
	s_and_saveexec_b32 s0, vcc_lo
	s_cbranch_execz .LBB0_23
; %bb.1:
	v_mul_hi_u32 v2, 0xcccccccd, v35
	v_mul_lo_u16 v1, v1, 22
	s_clause 0x1
	s_load_dwordx2 s[14:15], s[4:5], 0x0
	s_load_dwordx2 s[12:13], s[4:5], 0x38
	v_sub_nc_u16 v0, v0, v1
	v_lshrrev_b32_e32 v2, 2, v2
	v_and_b32_e32 v49, 0xffff, v0
	v_cmp_gt_u16_e32 vcc_lo, 14, v0
	v_lshl_add_u32 v2, v2, 2, v2
	v_lshlrev_b32_e32 v48, 3, v49
	v_or_b32_e32 v46, 0x70, v49
	v_sub_nc_u32_e32 v1, v35, v2
	v_mul_u32_u24_e32 v47, 0x9a, v1
	v_lshlrev_b32_e32 v50, 3, v47
	s_and_saveexec_b32 s1, vcc_lo
	s_cbranch_execz .LBB0_3
; %bb.2:
	s_load_dwordx2 s[6:7], s[4:5], 0x18
	v_lshl_add_u32 v53, v49, 3, v50
	v_add_nc_u32_e32 v54, v50, v48
	s_waitcnt lgkmcnt(0)
	global_load_dwordx2 v[11:12], v48, s[14:15] offset:896
	s_load_dwordx4 s[8:11], s[6:7], 0x0
	s_waitcnt lgkmcnt(0)
	v_mad_u64_u32 v[0:1], null, s10, v35, 0
	v_mad_u64_u32 v[2:3], null, s8, v49, 0
	s_mul_i32 s0, s9, 0x70
	s_mul_hi_u32 s6, s8, 0x70
	s_mul_i32 s7, s8, 0x70
	s_add_i32 s6, s6, s0
	v_mad_u64_u32 v[4:5], null, s11, v35, v[1:2]
	v_mad_u64_u32 v[5:6], null, s9, v49, v[3:4]
	global_load_dwordx2 v[6:7], v48, s[14:15]
	v_mov_b32_e32 v1, v4
	v_lshlrev_b64 v[0:1], 3, v[0:1]
	v_mov_b32_e32 v3, v5
	v_mad_u64_u32 v[4:5], null, s8, v46, 0
	v_lshlrev_b64 v[2:3], 3, v[2:3]
	v_add_co_u32 v19, s0, s2, v0
	v_add_co_ci_u32_e64 v20, s0, s3, v1, s0
	v_mov_b32_e32 v0, v5
	v_add_co_u32 v1, s0, v19, v2
	v_add_co_ci_u32_e64 v2, s0, v20, v3, s0
	v_mad_u64_u32 v[8:9], null, s9, v46, v[0:1]
	v_add_co_u32 v9, s0, v1, s7
	v_add_co_ci_u32_e64 v10, s0, s6, v2, s0
	global_load_dwordx2 v[0:1], v[1:2], off
	v_add_co_u32 v13, s0, v9, s7
	v_add_co_ci_u32_e64 v14, s0, s6, v10, s0
	v_mov_b32_e32 v5, v8
	v_add_co_u32 v15, s0, v13, s7
	v_add_co_ci_u32_e64 v16, s0, s6, v14, s0
	v_lshlrev_b64 v[3:4], 3, v[4:5]
	v_add_co_u32 v17, s0, v15, s7
	v_add_co_ci_u32_e64 v18, s0, s6, v16, s0
	v_add_co_u32 v3, s0, v19, v3
	v_add_co_ci_u32_e64 v4, s0, v20, v4, s0
	v_add_co_u32 v19, s0, v17, s7
	v_add_co_ci_u32_e64 v20, s0, s6, v18, s0
	global_load_dwordx2 v[2:3], v[3:4], off
	v_add_co_u32 v21, s0, v19, s7
	v_add_co_ci_u32_e64 v22, s0, s6, v20, s0
	global_load_dwordx2 v[23:24], v48, s[14:15] offset:112
	global_load_dwordx2 v[8:9], v[9:10], off
	v_add_co_u32 v4, s0, v21, s7
	v_add_co_ci_u32_e64 v5, s0, s6, v22, s0
	global_load_dwordx2 v[13:14], v[13:14], off
	s_clause 0x1
	global_load_dwordx2 v[27:28], v48, s[14:15] offset:224
	global_load_dwordx2 v[29:30], v48, s[14:15] offset:336
	s_clause 0x1
	global_load_dwordx2 v[15:16], v[15:16], off
	global_load_dwordx2 v[17:18], v[17:18], off
	global_load_dwordx2 v[31:32], v48, s[14:15] offset:448
	global_load_dwordx2 v[19:20], v[19:20], off
	s_clause 0x2
	global_load_dwordx2 v[36:37], v48, s[14:15] offset:560
	global_load_dwordx2 v[38:39], v48, s[14:15] offset:672
	;; [unrolled: 1-line block ×3, first 2 shown]
	global_load_dwordx2 v[21:22], v[21:22], off
	v_mad_u64_u32 v[25:26], null, 0xe0, s8, v[4:5]
	global_load_dwordx2 v[4:5], v[4:5], off
	v_mov_b32_e32 v10, v26
	s_waitcnt vmcnt(17)
	v_mad_u64_u32 v[33:34], null, 0xe0, s9, v[10:11]
	v_mov_b32_e32 v26, v33
	v_add_co_u32 v33, s0, v25, s7
	v_add_co_ci_u32_e64 v34, s0, s6, v26, s0
	global_load_dwordx2 v[25:26], v[25:26], off
	s_clause 0x1
	global_load_dwordx2 v[42:43], v48, s[14:15] offset:1008
	global_load_dwordx2 v[44:45], v48, s[14:15] offset:1120
	global_load_dwordx2 v[33:34], v[33:34], off
	s_waitcnt vmcnt(19)
	v_mul_f32_e32 v51, v1, v7
	v_mul_f32_e32 v7, v0, v7
	v_fmac_f32_e32 v51, v0, v6
	v_fma_f32 v52, v1, v6, -v7
	ds_write_b64 v53, v[51:52]
	s_waitcnt vmcnt(18)
	v_mul_f32_e32 v10, v3, v12
	v_mul_f32_e32 v12, v2, v12
	s_waitcnt vmcnt(16)
	v_mul_f32_e32 v0, v9, v24
	v_mul_f32_e32 v1, v8, v24
	v_fmac_f32_e32 v10, v2, v11
	v_fma_f32 v11, v3, v11, -v12
	s_waitcnt vmcnt(14)
	v_mul_f32_e32 v2, v14, v28
	s_waitcnt vmcnt(12)
	v_mul_f32_e32 v7, v15, v30
	v_mul_f32_e32 v3, v13, v28
	;; [unrolled: 1-line block ×3, first 2 shown]
	v_fmac_f32_e32 v0, v8, v23
	s_waitcnt vmcnt(10)
	v_mul_f32_e32 v8, v18, v32
	v_fma_f32 v1, v9, v23, -v1
	v_fmac_f32_e32 v2, v13, v27
	v_mul_f32_e32 v9, v17, v32
	v_fma_f32 v7, v16, v29, -v7
	s_waitcnt vmcnt(8)
	v_mul_f32_e32 v12, v20, v37
	v_mul_f32_e32 v13, v19, v37
	s_waitcnt vmcnt(4)
	v_mul_f32_e32 v16, v5, v41
	v_fma_f32 v3, v14, v27, -v3
	v_fmac_f32_e32 v6, v15, v29
	v_mul_f32_e32 v14, v22, v39
	v_mul_f32_e32 v15, v21, v39
	v_fmac_f32_e32 v8, v17, v31
	v_mul_f32_e32 v17, v4, v41
	v_fma_f32 v9, v18, v31, -v9
	v_fmac_f32_e32 v12, v19, v36
	v_fma_f32 v13, v20, v36, -v13
	v_fmac_f32_e32 v16, v4, v40
	v_fmac_f32_e32 v14, v21, v38
	v_fma_f32 v15, v22, v38, -v15
	v_fma_f32 v17, v5, v40, -v17
	s_waitcnt vmcnt(2)
	v_mul_f32_e32 v4, v26, v43
	v_mul_f32_e32 v19, v25, v43
	s_waitcnt vmcnt(0)
	v_mul_f32_e32 v18, v34, v45
	v_mul_f32_e32 v20, v33, v45
	v_fmac_f32_e32 v4, v25, v42
	v_fma_f32 v5, v26, v42, -v19
	v_fmac_f32_e32 v18, v33, v44
	v_fma_f32 v19, v34, v44, -v20
	ds_write2_b64 v54, v[0:1], v[2:3] offset0:14 offset1:28
	ds_write2_b64 v54, v[6:7], v[8:9] offset0:42 offset1:56
	;; [unrolled: 1-line block ×5, first 2 shown]
.LBB0_3:
	s_or_b32 exec_lo, exec_lo, s1
	s_clause 0x1
	s_load_dwordx2 s[6:7], s[4:5], 0x20
	s_load_dwordx2 s[2:3], s[4:5], 0x8
	v_mov_b32_e32 v4, 0
	v_mov_b32_e32 v5, 0
	s_waitcnt lgkmcnt(0)
	s_barrier
	buffer_gl0_inv
                                        ; implicit-def: $vgpr14
                                        ; implicit-def: $vgpr8
                                        ; implicit-def: $vgpr20
                                        ; implicit-def: $vgpr18
                                        ; implicit-def: $vgpr26
	s_and_saveexec_b32 s0, vcc_lo
	s_cbranch_execz .LBB0_5
; %bb.4:
	v_lshl_add_u32 v0, v47, 3, v48
	ds_read2_b64 v[4:7], v0 offset1:14
	ds_read2_b64 v[24:27], v0 offset0:28 offset1:42
	ds_read2_b64 v[16:19], v0 offset0:56 offset1:70
	;; [unrolled: 1-line block ×4, first 2 shown]
	ds_read_b64 v[20:21], v0 offset:1120
.LBB0_5:
	s_or_b32 exec_lo, exec_lo, s0
	s_waitcnt lgkmcnt(0)
	v_sub_f32_e32 v64, v7, v21
	v_add_f32_e32 v42, v20, v6
	v_sub_f32_e32 v71, v25, v11
	v_sub_f32_e32 v53, v6, v20
	v_add_f32_e32 v45, v10, v24
	v_mul_f32_e32 v28, 0xbf0a6770, v64
	v_sub_f32_e32 v73, v27, v9
	v_mul_f32_e32 v30, 0xbf68dda4, v71
	v_add_f32_e32 v61, v21, v7
	v_mul_f32_e32 v29, 0xbf0a6770, v53
	v_fmamk_f32 v0, v42, 0x3f575c64, v28
	v_sub_f32_e32 v65, v24, v10
	v_fmamk_f32 v2, v45, 0x3ed4b147, v30
	v_add_f32_e32 v56, v8, v26
	v_mul_f32_e32 v32, 0xbf7d64f0, v73
	v_add_f32_e32 v0, v0, v4
	v_sub_f32_e32 v81, v17, v15
	v_fma_f32 v1, 0x3f575c64, v61, -v29
	v_add_f32_e32 v54, v11, v25
	v_mul_f32_e32 v31, 0xbf68dda4, v65
	v_sub_f32_e32 v72, v26, v8
	v_add_f32_e32 v0, v2, v0
	v_fmamk_f32 v2, v56, 0xbe11bafb, v32
	v_add_f32_e32 v62, v14, v16
	v_mul_f32_e32 v34, 0xbf4178ce, v81
	v_sub_f32_e32 v70, v19, v13
	v_add_f32_e32 v1, v1, v5
	v_mul_f32_e32 v39, 0xbf68dda4, v64
	v_fma_f32 v3, 0x3ed4b147, v54, -v31
	v_add_f32_e32 v57, v9, v27
	v_mul_f32_e32 v33, 0xbf7d64f0, v72
	v_sub_f32_e32 v80, v16, v14
	v_add_f32_e32 v0, v2, v0
	v_fmamk_f32 v2, v62, 0xbf27a4f4, v34
	v_add_f32_e32 v67, v12, v18
	v_mul_f32_e32 v40, 0xbe903f40, v70
	v_mul_f32_e32 v59, 0xbf68dda4, v53
	v_add_f32_e32 v1, v3, v1
	v_fma_f32 v3, 0xbe11bafb, v57, -v33
	v_add_f32_e32 v66, v15, v17
	v_mul_f32_e32 v38, 0xbf4178ce, v80
	v_sub_f32_e32 v75, v18, v12
	v_fmamk_f32 v22, v42, 0x3ed4b147, v39
	v_add_f32_e32 v0, v2, v0
	v_fmamk_f32 v2, v67, 0xbf75a155, v40
	v_mul_f32_e32 v52, 0xbf4178ce, v71
	v_fma_f32 v23, 0x3ed4b147, v61, -v59
	v_mul_f32_e32 v60, 0xbf4178ce, v65
	v_add_f32_e32 v1, v3, v1
	v_fma_f32 v3, 0xbf27a4f4, v66, -v38
	v_add_f32_e32 v69, v13, v19
	v_mul_f32_e32 v41, 0xbe903f40, v75
	v_add_f32_e32 v22, v22, v4
	v_add_f32_e32 v36, v2, v0
	v_fmamk_f32 v0, v45, 0xbf27a4f4, v52
	v_mul_f32_e32 v55, 0x3e903f40, v73
	v_add_f32_e32 v2, v23, v5
	v_fma_f32 v23, 0xbf27a4f4, v54, -v60
	v_mul_f32_e32 v58, 0x3e903f40, v72
	v_add_f32_e32 v1, v3, v1
	v_fma_f32 v3, 0xbf75a155, v69, -v41
	v_add_f32_e32 v0, v0, v22
	v_fmamk_f32 v22, v56, 0xbf75a155, v55
	v_mul_f32_e32 v43, 0x3f7d64f0, v81
	v_add_f32_e32 v2, v23, v2
	v_fma_f32 v23, 0xbf75a155, v57, -v58
	v_mul_f32_e32 v63, 0x3f7d64f0, v80
	v_add_f32_e32 v0, v22, v0
	v_fmamk_f32 v22, v62, 0xbe11bafb, v43
	v_add_f32_e32 v37, v3, v1
	v_add_f32_e32 v1, v23, v2
	v_fma_f32 v2, 0xbe11bafb, v66, -v63
	v_mul_f32_e32 v78, 0xbf7d64f0, v64
	v_mul_f32_e32 v44, 0x3f0a6770, v70
	v_add_f32_e32 v0, v22, v0
	v_mul_f32_e32 v74, 0x3e903f40, v71
	v_add_f32_e32 v1, v2, v1
	v_fmamk_f32 v2, v42, 0xbe11bafb, v78
	v_fmamk_f32 v3, v67, 0x3f575c64, v44
	v_mul_f32_e32 v83, 0xbf7d64f0, v53
	v_fmamk_f32 v51, v45, 0xbf75a155, v74
	v_mul_f32_e32 v79, 0x3f68dda4, v73
	v_add_f32_e32 v23, v2, v4
	v_add_f32_e32 v2, v3, v0
	v_fma_f32 v0, 0xbe11bafb, v61, -v83
	v_mul_f32_e32 v85, 0x3e903f40, v65
	v_mul_f32_e32 v76, 0xbf0a6770, v81
	v_add_f32_e32 v3, v51, v23
	v_fmamk_f32 v23, v56, 0x3ed4b147, v79
	v_add_f32_e32 v0, v0, v5
	v_fma_f32 v51, 0xbf75a155, v54, -v85
	v_mul_f32_e32 v84, 0x3f68dda4, v72
	v_mul_f32_e32 v88, 0xbf4178ce, v64
	v_add_f32_e32 v3, v23, v3
	v_fmamk_f32 v23, v62, 0x3f575c64, v76
	;; [unrolled: 6-line block ×4, first 2 shown]
	v_add_f32_e32 v51, v51, v5
	v_fma_f32 v92, 0xbe11bafb, v54, -v94
	v_mul_f32_e32 v91, 0xbf0a6770, v73
	v_mul_f32_e32 v95, 0xbf0a6770, v72
	v_fma_f32 v87, 0x3f575c64, v66, -v82
	v_add_f32_e32 v3, v89, v3
	v_add_f32_e32 v51, v92, v51
	v_fmamk_f32 v92, v56, 0x3f575c64, v91
	v_fma_f32 v98, 0x3f575c64, v57, -v95
	v_mul_f32_e32 v89, 0xbe903f40, v81
	v_mul_f32_e32 v96, 0xbe903f40, v80
	;; [unrolled: 1-line block ×5, first 2 shown]
	v_add_f32_e32 v99, v87, v0
	v_add_f32_e32 v0, v92, v3
	v_add_f32_e32 v3, v98, v51
	v_fmamk_f32 v51, v62, 0xbf75a155, v89
	v_fma_f32 v98, 0xbf75a155, v66, -v96
	v_mul_f32_e32 v87, 0x3f68dda4, v70
	v_mul_f32_e32 v92, 0x3f68dda4, v75
	v_fma_f32 v22, 0x3f575c64, v69, -v68
	v_fmamk_f32 v97, v67, 0xbf27a4f4, v77
	v_fma_f32 v100, 0xbf27a4f4, v69, -v86
	v_add_f32_e32 v51, v51, v0
	v_add_f32_e32 v98, v98, v3
	v_fmamk_f32 v101, v67, 0x3ed4b147, v87
	v_fma_f32 v102, 0x3ed4b147, v69, -v92
	v_add_f32_e32 v3, v22, v1
	v_add_f32_e32 v0, v97, v23
	;; [unrolled: 1-line block ×5, first 2 shown]
	v_mul_lo_u16 v51, v49, 11
	s_barrier
	buffer_gl0_inv
	s_and_saveexec_b32 s0, vcc_lo
	s_cbranch_execz .LBB0_7
; %bb.6:
	v_mul_f32_e32 v97, 0xbf75a155, v61
	v_mul_f32_e32 v64, 0xbe903f40, v64
	v_mul_f32_e32 v100, 0x3f575c64, v54
	v_mul_f32_e32 v71, 0x3f0a6770, v71
	v_mul_f32_e32 v104, 0xbf27a4f4, v57
	v_fmamk_f32 v101, v53, 0x3e903f40, v97
	v_fmamk_f32 v110, v42, 0xbf75a155, v64
	;; [unrolled: 1-line block ×3, first 2 shown]
	v_fmac_f32_e32 v97, 0xbe903f40, v53
	v_fmac_f32_e32 v100, 0x3f0a6770, v65
	v_add_f32_e32 v101, v101, v5
	v_add_f32_e32 v110, v110, v4
	v_fmamk_f32 v65, v45, 0x3f575c64, v71
	v_mul_f32_e32 v73, 0xbf4178ce, v73
	v_mul_f32_e32 v98, 0x3f575c64, v42
	;; [unrolled: 1-line block ×4, first 2 shown]
	v_fmamk_f32 v108, v72, 0x3f4178ce, v104
	v_add_f32_e32 v101, v105, v101
	v_mul_f32_e32 v105, 0xbf27a4f4, v42
	v_mul_f32_e32 v109, 0x3ed4b147, v66
	v_add_f32_e32 v97, v97, v5
	v_add_f32_e32 v65, v65, v110
	v_fmamk_f32 v110, v56, 0xbf27a4f4, v73
	v_fma_f32 v42, 0xbf75a155, v42, -v64
	v_mul_f32_e32 v99, 0x3f575c64, v61
	v_mul_f32_e32 v103, 0x3ed4b147, v61
	;; [unrolled: 1-line block ×4, first 2 shown]
	v_add_f32_e32 v101, v108, v101
	v_mul_f32_e32 v108, 0x3ed4b147, v45
	v_fmamk_f32 v53, v80, 0xbf68dda4, v109
	v_add_f32_e32 v97, v100, v97
	v_mul_f32_e32 v100, 0xbf27a4f4, v45
	v_fmac_f32_e32 v104, 0xbf4178ce, v72
	v_add_f32_e32 v65, v110, v65
	v_mul_f32_e32 v110, 0xbf75a155, v45
	v_fmac_f32_e32 v109, 0x3f68dda4, v80
	v_mul_f32_e32 v80, 0xbe11bafb, v45
	v_fma_f32 v45, 0x3f575c64, v45, -v71
	v_add_f32_e32 v42, v42, v4
	v_add_f32_e32 v53, v53, v101
	v_mul_f32_e32 v101, 0x3ed4b147, v54
	v_mul_f32_e32 v72, 0xbf27a4f4, v54
	;; [unrolled: 1-line block ×3, first 2 shown]
	v_add_f32_e32 v97, v104, v97
	v_mul_f32_e32 v104, 0xbf75a155, v54
	v_mul_f32_e32 v54, 0xbe11bafb, v54
	v_add_f32_e32 v42, v45, v42
	v_add_f32_e32 v45, v93, v61
	v_fmamk_f32 v64, v62, 0x3ed4b147, v81
	v_fma_f32 v73, 0xbf27a4f4, v56, -v73
	v_add_f32_e32 v54, v94, v54
	v_mul_f32_e32 v111, 0xbf75a155, v57
	v_add_f32_e32 v45, v45, v5
	v_add_f32_e32 v64, v64, v65
	v_mul_f32_e32 v65, 0xbe11bafb, v57
	v_mul_f32_e32 v93, 0x3ed4b147, v57
	;; [unrolled: 1-line block ×3, first 2 shown]
	v_add_f32_e32 v42, v73, v42
	v_add_f32_e32 v45, v54, v45
	v_fma_f32 v54, 0x3ed4b147, v62, -v81
	v_add_f32_e32 v7, v7, v5
	v_add_f32_e32 v57, v95, v57
	;; [unrolled: 1-line block ×3, first 2 shown]
	v_mul_f32_e32 v71, 0xbe11bafb, v56
	v_add_f32_e32 v95, v54, v42
	v_sub_f32_e32 v54, v105, v88
	v_add_f32_e32 v97, v109, v97
	v_mul_f32_e32 v109, 0xbf75a155, v56
	v_mul_f32_e32 v61, 0x3ed4b147, v56
	;; [unrolled: 1-line block ×3, first 2 shown]
	v_sub_f32_e32 v80, v80, v90
	v_add_f32_e32 v54, v54, v4
	v_add_f32_e32 v7, v25, v7
	;; [unrolled: 1-line block ×3, first 2 shown]
	v_mul_f32_e32 v94, 0xbf27a4f4, v62
	v_add_f32_e32 v42, v57, v45
	v_mul_f32_e32 v57, 0xbe11bafb, v62
	v_mul_f32_e32 v88, 0x3f575c64, v62
	;; [unrolled: 1-line block ×3, first 2 shown]
	v_add_f32_e32 v80, v80, v54
	v_sub_f32_e32 v56, v56, v91
	v_add_f32_e32 v7, v27, v7
	v_add_f32_e32 v24, v26, v24
	v_sub_f32_e32 v62, v62, v89
	v_mul_f32_e32 v73, 0xbe11bafb, v69
	v_add_f32_e32 v56, v56, v80
	v_add_f32_e32 v7, v17, v7
	;; [unrolled: 1-line block ×6, first 2 shown]
	v_sub_f32_e32 v56, v106, v78
	v_sub_f32_e32 v39, v102, v39
	v_add_f32_e32 v29, v29, v99
	v_sub_f32_e32 v27, v98, v28
	v_add_f32_e32 v7, v19, v7
	v_add_f32_e32 v16, v18, v16
	v_fmamk_f32 v81, v75, 0x3f7d64f0, v73
	v_fmac_f32_e32 v73, 0xbf7d64f0, v75
	v_mul_f32_e32 v75, 0xbf75a155, v66
	v_add_f32_e32 v107, v54, v5
	v_add_f32_e32 v56, v56, v4
	;; [unrolled: 1-line block ×7, first 2 shown]
	v_sub_f32_e32 v24, v108, v30
	v_add_f32_e32 v7, v13, v7
	v_add_f32_e32 v12, v12, v16
	;; [unrolled: 1-line block ×3, first 2 shown]
	v_sub_f32_e32 v74, v110, v74
	v_add_f32_e32 v60, v60, v72
	v_sub_f32_e32 v52, v100, v52
	v_add_f32_e32 v45, v96, v75
	v_mul_f32_e32 v112, 0xbf27a4f4, v66
	v_mul_f32_e32 v90, 0x3ed4b147, v69
	v_add_f32_e32 v5, v17, v5
	v_add_f32_e32 v17, v33, v65
	;; [unrolled: 1-line block ×3, first 2 shown]
	v_sub_f32_e32 v13, v71, v32
	v_add_f32_e32 v7, v15, v7
	v_add_f32_e32 v12, v14, v12
	v_mul_f32_e32 v75, 0xbe11bafb, v66
	v_mul_f32_e32 v66, 0x3f575c64, v66
	v_add_f32_e32 v54, v73, v97
	v_add_f32_e32 v73, v83, v107
	;; [unrolled: 1-line block ×4, first 2 shown]
	v_sub_f32_e32 v61, v61, v79
	v_add_f32_e32 v59, v60, v59
	v_add_f32_e32 v58, v58, v111
	;; [unrolled: 1-line block ×3, first 2 shown]
	v_sub_f32_e32 v52, v109, v55
	v_add_f32_e32 v45, v45, v42
	v_mul_f32_e32 v42, 0xbf7d64f0, v70
	v_mul_f32_e32 v96, 0xbf75a155, v67
	v_add_f32_e32 v90, v92, v90
	v_mul_f32_e32 v92, 0xbf75a155, v69
	v_add_f32_e32 v5, v17, v5
	v_add_f32_e32 v16, v38, v112
	;; [unrolled: 1-line block ×3, first 2 shown]
	v_sub_f32_e32 v13, v94, v34
	v_add_f32_e32 v7, v9, v7
	v_add_f32_e32 v8, v8, v12
	v_mul_f32_e32 v105, 0x3f575c64, v67
	v_mul_f32_e32 v91, 0x3f575c64, v69
	;; [unrolled: 1-line block ×4, first 2 shown]
	v_add_f32_e32 v73, v80, v73
	v_add_f32_e32 v66, v82, v66
	;; [unrolled: 1-line block ×3, first 2 shown]
	v_sub_f32_e32 v61, v88, v76
	v_add_f32_e32 v58, v58, v59
	v_add_f32_e32 v59, v63, v75
	v_add_f32_e32 v39, v52, v39
	v_sub_f32_e32 v43, v57, v43
	v_fmamk_f32 v85, v67, 0xbe11bafb, v42
	v_fma_f32 v104, 0xbe11bafb, v67, -v42
	v_mul_f32_e32 v67, 0x3ed4b147, v67
	v_add_f32_e32 v5, v16, v5
	v_add_f32_e32 v9, v41, v92
	;; [unrolled: 1-line block ×3, first 2 shown]
	v_sub_f32_e32 v12, v96, v40
	v_add_f32_e32 v11, v11, v7
	v_add_f32_e32 v13, v10, v8
	v_and_b32_e32 v14, 0xffff, v51
	v_add_f32_e32 v66, v66, v73
	v_add_f32_e32 v69, v86, v69
	;; [unrolled: 1-line block ×3, first 2 shown]
	v_sub_f32_e32 v61, v70, v77
	v_add_f32_e32 v58, v59, v58
	v_add_f32_e32 v59, v68, v91
	;; [unrolled: 1-line block ×3, first 2 shown]
	v_sub_f32_e32 v26, v105, v44
	v_sub_f32_e32 v67, v67, v87
	v_add_f32_e32 v8, v9, v5
	v_add_f32_e32 v7, v12, v4
	;; [unrolled: 1-line block ×4, first 2 shown]
	v_add_lshl_u32 v4, v47, v14, 3
	v_add_f32_e32 v56, v69, v66
	v_add_f32_e32 v55, v61, v60
	;; [unrolled: 1-line block ×9, first 2 shown]
	ds_write2_b64 v4, v[9:10], v[7:8] offset1:1
	ds_write2_b64 v4, v[5:6], v[55:56] offset0:2 offset1:3
	ds_write2_b64 v4, v[44:45], v[53:54] offset0:4 offset1:5
	;; [unrolled: 1-line block ×4, first 2 shown]
	ds_write_b64 v4, v[36:37] offset:80
.LBB0_7:
	s_or_b32 exec_lo, exec_lo, s0
	v_add_co_u32 v24, s0, v49, -11
	v_add_co_ci_u32_e64 v25, null, 0, -1, s0
	v_cmp_gt_u16_e64 s0, 11, v49
	s_load_dwordx4 s[4:7], s[6:7], 0x0
	s_waitcnt lgkmcnt(0)
	s_barrier
	buffer_gl0_inv
	v_cndmask_b32_e64 v34, v24, v49, s0
	v_add_lshl_u32 v53, v47, v49, 3
	v_mul_hi_i32_i24_e32 v5, 6, v34
	v_mul_i32_i24_e32 v4, 6, v34
	v_lshlrev_b64 v[4:5], 3, v[4:5]
	v_add_co_u32 v4, s1, s2, v4
	v_add_co_ci_u32_e64 v5, s1, s3, v5, s1
	s_clause 0x2
	global_load_dwordx4 v[12:15], v[4:5], off
	global_load_dwordx4 v[8:11], v[4:5], off offset:16
	global_load_dwordx4 v[4:7], v[4:5], off offset:32
	ds_read2_b64 v[16:19], v53 offset1:22
	ds_read2_b64 v[26:29], v53 offset0:44 offset1:66
	ds_read2_b64 v[30:33], v53 offset0:88 offset1:110
	ds_read_b64 v[20:21], v53 offset:1056
	v_cmp_lt_u16_e64 s1, 10, v49
	s_waitcnt vmcnt(0) lgkmcnt(0)
	s_barrier
	buffer_gl0_inv
	v_cndmask_b32_e64 v38, 0, 0x4d, s1
	v_add_nc_u32_e32 v34, v34, v38
	v_add_lshl_u32 v54, v47, v34, 3
	v_mul_f32_e32 v34, v19, v13
	v_mul_f32_e32 v38, v18, v13
	;; [unrolled: 1-line block ×12, first 2 shown]
	v_fma_f32 v18, v18, v12, -v34
	v_fmac_f32_e32 v38, v19, v12
	v_fma_f32 v19, v26, v14, -v39
	v_fmac_f32_e32 v40, v27, v14
	;; [unrolled: 2-line block ×6, first 2 shown]
	v_add_f32_e32 v28, v18, v20
	v_add_f32_e32 v29, v38, v56
	;; [unrolled: 1-line block ×4, first 2 shown]
	v_sub_f32_e32 v18, v18, v20
	v_sub_f32_e32 v20, v38, v56
	;; [unrolled: 1-line block ×4, first 2 shown]
	v_add_f32_e32 v32, v26, v27
	v_add_f32_e32 v33, v42, v44
	v_sub_f32_e32 v26, v27, v26
	v_sub_f32_e32 v27, v44, v42
	v_add_f32_e32 v34, v30, v28
	v_add_f32_e32 v38, v31, v29
	v_sub_f32_e32 v39, v30, v28
	v_sub_f32_e32 v40, v31, v29
	;; [unrolled: 1-line block ×6, first 2 shown]
	v_add_f32_e32 v41, v26, v19
	v_add_f32_e32 v42, v27, v21
	v_sub_f32_e32 v43, v26, v19
	v_sub_f32_e32 v44, v27, v21
	v_sub_f32_e32 v19, v19, v18
	v_sub_f32_e32 v21, v21, v20
	v_add_f32_e32 v32, v32, v34
	v_add_f32_e32 v33, v33, v38
	v_sub_f32_e32 v26, v18, v26
	v_sub_f32_e32 v27, v20, v27
	v_add_f32_e32 v18, v41, v18
	v_add_f32_e32 v20, v42, v20
	v_mul_f32_e32 v28, 0x3f4a47b2, v28
	v_mul_f32_e32 v29, 0x3f4a47b2, v29
	;; [unrolled: 1-line block ×8, first 2 shown]
	v_add_f32_e32 v16, v16, v32
	v_add_f32_e32 v17, v17, v33
	v_fmamk_f32 v30, v30, 0x3d64c772, v28
	v_fmamk_f32 v31, v31, 0x3d64c772, v29
	v_fma_f32 v34, 0x3f3bfb3b, v39, -v34
	v_fma_f32 v38, 0x3f3bfb3b, v40, -v38
	;; [unrolled: 1-line block ×4, first 2 shown]
	v_fmamk_f32 v39, v26, 0x3eae86e6, v41
	v_fmamk_f32 v40, v27, 0x3eae86e6, v42
	v_fma_f32 v41, 0x3f5ff5aa, v19, -v41
	v_fma_f32 v21, 0x3f5ff5aa, v21, -v42
	;; [unrolled: 1-line block ×4, first 2 shown]
	v_fmamk_f32 v19, v32, 0xbf955555, v16
	v_fmamk_f32 v26, v33, 0xbf955555, v17
	v_fmac_f32_e32 v39, 0x3ee1c552, v18
	v_fmac_f32_e32 v40, 0x3ee1c552, v20
	;; [unrolled: 1-line block ×4, first 2 shown]
	v_add_f32_e32 v20, v30, v19
	v_add_f32_e32 v44, v31, v26
	v_fmac_f32_e32 v41, 0x3ee1c552, v18
	v_fmac_f32_e32 v42, 0x3ee1c552, v18
	v_add_f32_e32 v30, v34, v19
	v_add_f32_e32 v32, v28, v19
	;; [unrolled: 1-line block ×5, first 2 shown]
	v_sub_f32_e32 v19, v44, v39
	v_add_f32_e32 v26, v43, v32
	v_sub_f32_e32 v27, v33, v42
	v_sub_f32_e32 v28, v30, v21
	v_add_f32_e32 v29, v41, v31
	v_add_f32_e32 v30, v21, v30
	v_sub_f32_e32 v31, v31, v41
	v_sub_f32_e32 v32, v32, v43
	v_add_f32_e32 v33, v42, v33
	v_sub_f32_e32 v20, v20, v40
	v_add_f32_e32 v21, v39, v44
	ds_write2_b64 v54, v[16:17], v[18:19] offset1:11
	ds_write2_b64 v54, v[26:27], v[28:29] offset0:22 offset1:33
	ds_write2_b64 v54, v[30:31], v[32:33] offset0:44 offset1:55
	ds_write_b64 v54, v[20:21] offset:528
	s_waitcnt lgkmcnt(0)
	s_barrier
	buffer_gl0_inv
	ds_read2_b64 v[31:34], v53 offset1:22
	ds_read2_b64 v[26:29], v53 offset0:44 offset1:77
	ds_read2_b64 v[16:19], v53 offset0:99 offset1:121
	s_and_saveexec_b32 s1, s0
	s_cbranch_execz .LBB0_9
; %bb.8:
	ds_read2_b64 v[20:23], v53 offset0:66 offset1:143
	v_add_co_u32 v24, s8, 0x42, v49
	v_add_co_ci_u32_e64 v25, null, 0, 0, s8
.LBB0_9:
	s_or_b32 exec_lo, exec_lo, s1
	v_lshlrev_b64 v[24:25], 3, v[24:25]
	s_clause 0x2
	global_load_dwordx2 v[40:41], v48, s[2:3] offset:528
	global_load_dwordx2 v[44:45], v48, s[2:3] offset:704
	;; [unrolled: 1-line block ×3, first 2 shown]
	v_lshl_add_u32 v52, v49, 3, v50
	v_add_nc_u32_e32 v55, v48, v50
	v_add_co_u32 v24, s1, s2, v24
	v_add_co_ci_u32_e64 v25, s1, s3, v25, s1
	global_load_dwordx2 v[38:39], v[24:25], off offset:528
	s_waitcnt vmcnt(2) lgkmcnt(0)
	v_mul_f32_e32 v30, v17, v45
	v_mul_f32_e32 v24, v29, v41
	;; [unrolled: 1-line block ×4, first 2 shown]
	s_waitcnt vmcnt(1)
	v_mul_f32_e32 v57, v19, v43
	v_fma_f32 v16, v16, v44, -v30
	v_fma_f32 v24, v28, v40, -v24
	v_mul_f32_e32 v58, v18, v43
	v_fmac_f32_e32 v25, v29, v40
	v_fmac_f32_e32 v56, v17, v44
	v_fma_f32 v17, v18, v42, -v57
	v_sub_f32_e32 v18, v31, v24
	v_sub_f32_e32 v24, v33, v16
	s_waitcnt vmcnt(0)
	v_mul_f32_e32 v16, v23, v39
	v_mul_f32_e32 v30, v22, v39
	v_fmac_f32_e32 v58, v19, v42
	v_sub_f32_e32 v19, v32, v25
	v_sub_f32_e32 v25, v34, v56
	v_fma_f32 v56, v22, v38, -v16
	v_fmac_f32_e32 v30, v23, v38
	v_sub_f32_e32 v28, v26, v17
	v_sub_f32_e32 v29, v27, v58
	v_fma_f32 v17, v32, 2.0, -v19
	v_fma_f32 v22, v33, 2.0, -v24
	v_sub_f32_e32 v32, v20, v56
	v_sub_f32_e32 v33, v21, v30
	v_fma_f32 v16, v31, 2.0, -v18
	v_fma_f32 v23, v34, 2.0, -v25
	;; [unrolled: 1-line block ×6, first 2 shown]
	ds_write2_b64 v52, v[16:17], v[22:23] offset1:22
	ds_write_b64 v52, v[24:25] offset:792
	ds_write2_b64 v52, v[26:27], v[18:19] offset0:44 offset1:77
	ds_write_b64 v55, v[28:29] offset:968
	s_and_saveexec_b32 s1, s0
	s_cbranch_execz .LBB0_11
; %bb.10:
	ds_write2_b64 v52, v[30:31], v[32:33] offset0:66 offset1:143
.LBB0_11:
	s_or_b32 exec_lo, exec_lo, s1
	s_waitcnt lgkmcnt(0)
	s_barrier
	buffer_gl0_inv
	s_and_saveexec_b32 s1, vcc_lo
	s_cbranch_execz .LBB0_13
; %bb.12:
	s_add_u32 s2, s14, 0x4d0
	s_addc_u32 s3, s15, 0
	s_clause 0xa
	global_load_dwordx2 v[20:21], v48, s[14:15] offset:1232
	global_load_dwordx2 v[76:77], v48, s[2:3] offset:112
	global_load_dwordx2 v[78:79], v48, s[2:3] offset:224
	global_load_dwordx2 v[80:81], v48, s[2:3] offset:336
	global_load_dwordx2 v[82:83], v48, s[2:3] offset:448
	global_load_dwordx2 v[84:85], v48, s[2:3] offset:560
	global_load_dwordx2 v[86:87], v48, s[2:3] offset:672
	global_load_dwordx2 v[88:89], v48, s[2:3] offset:784
	global_load_dwordx2 v[90:91], v48, s[2:3] offset:896
	global_load_dwordx2 v[92:93], v48, s[2:3] offset:1008
	global_load_dwordx2 v[94:95], v48, s[2:3] offset:1120
	ds_read2_b64 v[56:59], v52 offset1:14
	ds_read2_b64 v[60:63], v52 offset0:28 offset1:42
	ds_read2_b64 v[64:67], v52 offset0:56 offset1:70
	;; [unrolled: 1-line block ×4, first 2 shown]
	ds_read_b64 v[96:97], v52 offset:1120
	s_waitcnt vmcnt(10) lgkmcnt(5)
	v_mul_f32_e32 v34, v57, v21
	v_mul_f32_e32 v99, v56, v21
	s_waitcnt vmcnt(9)
	v_mul_f32_e32 v100, v59, v77
	v_mul_f32_e32 v21, v58, v77
	s_waitcnt vmcnt(8) lgkmcnt(4)
	v_mul_f32_e32 v101, v61, v79
	v_mul_f32_e32 v77, v60, v79
	s_waitcnt vmcnt(7)
	v_mul_f32_e32 v102, v63, v81
	v_mul_f32_e32 v79, v62, v81
	;; [unrolled: 6-line block ×5, first 2 shown]
	s_waitcnt vmcnt(0) lgkmcnt(0)
	v_mul_f32_e32 v109, v97, v95
	v_mul_f32_e32 v93, v96, v95
	v_fma_f32 v98, v56, v20, -v34
	v_fmac_f32_e32 v99, v57, v20
	v_fma_f32 v20, v58, v76, -v100
	v_fmac_f32_e32 v21, v59, v76
	;; [unrolled: 2-line block ×11, first 2 shown]
	ds_write2_b64 v52, v[98:99], v[20:21] offset1:14
	ds_write2_b64 v52, v[76:77], v[78:79] offset0:28 offset1:42
	ds_write2_b64 v52, v[80:81], v[82:83] offset0:56 offset1:70
	;; [unrolled: 1-line block ×4, first 2 shown]
	ds_write_b64 v52, v[92:93] offset:1120
.LBB0_13:
	s_or_b32 exec_lo, exec_lo, s1
	s_waitcnt lgkmcnt(0)
	s_barrier
	buffer_gl0_inv
	s_and_saveexec_b32 s1, vcc_lo
	s_cbranch_execz .LBB0_15
; %bb.14:
	ds_read2_b64 v[16:19], v52 offset1:14
	ds_read2_b64 v[22:25], v52 offset0:28 offset1:42
	ds_read2_b64 v[26:29], v52 offset0:56 offset1:70
	;; [unrolled: 1-line block ×4, first 2 shown]
	ds_read_b64 v[36:37], v52 offset:1120
.LBB0_15:
	s_or_b32 exec_lo, exec_lo, s1
	s_waitcnt lgkmcnt(0)
	v_sub_f32_e32 v65, v19, v37
	v_add_f32_e32 v71, v37, v19
	v_add_f32_e32 v34, v36, v18
	v_sub_f32_e32 v58, v18, v36
	v_sub_f32_e32 v66, v23, v3
	v_mul_f32_e32 v76, 0xbf4178ce, v65
	v_mul_f32_e32 v79, 0xbf27a4f4, v71
	v_add_f32_e32 v73, v3, v23
	v_add_f32_e32 v56, v2, v22
	v_mul_f32_e32 v75, 0x3f7d64f0, v66
	v_fma_f32 v20, 0xbf27a4f4, v34, -v76
	v_fmamk_f32 v21, v58, 0xbf4178ce, v79
	v_sub_f32_e32 v57, v22, v2
	v_mul_f32_e32 v81, 0xbe11bafb, v73
	v_sub_f32_e32 v67, v25, v1
	v_add_f32_e32 v20, v16, v20
	v_add_f32_e32 v21, v17, v21
	v_fma_f32 v61, 0xbe11bafb, v56, -v75
	v_add_f32_e32 v74, v1, v25
	v_fmamk_f32 v62, v57, 0x3f7d64f0, v81
	v_add_f32_e32 v59, v0, v24
	v_mul_f32_e32 v77, 0xbf0a6770, v67
	v_sub_f32_e32 v60, v24, v0
	v_mul_f32_e32 v82, 0x3f575c64, v74
	v_add_f32_e32 v20, v61, v20
	v_add_f32_e32 v21, v62, v21
	v_sub_f32_e32 v68, v27, v33
	v_fma_f32 v62, 0x3f575c64, v59, -v77
	v_add_f32_e32 v72, v33, v27
	v_fmamk_f32 v63, v60, 0xbf0a6770, v82
	v_add_f32_e32 v61, v32, v26
	v_mul_f32_e32 v78, 0xbe903f40, v68
	v_add_f32_e32 v20, v62, v20
	v_sub_f32_e32 v62, v26, v32
	v_mul_f32_e32 v84, 0xbf75a155, v72
	v_sub_f32_e32 v69, v29, v31
	v_add_f32_e32 v70, v31, v29
	v_add_f32_e32 v21, v63, v21
	v_fma_f32 v85, 0xbf75a155, v61, -v78
	v_fmamk_f32 v86, v62, 0xbe903f40, v84
	v_add_f32_e32 v63, v30, v28
	v_sub_f32_e32 v64, v28, v30
	v_mul_f32_e32 v80, 0x3f68dda4, v69
	v_mul_f32_e32 v83, 0x3ed4b147, v70
	v_add_f32_e32 v20, v85, v20
	v_add_f32_e32 v21, v86, v21
	v_fma_f32 v85, 0x3ed4b147, v63, -v80
	v_fmamk_f32 v86, v64, 0x3f68dda4, v83
	s_barrier
	buffer_gl0_inv
	v_add_f32_e32 v20, v85, v20
	v_add_f32_e32 v21, v86, v21
	s_and_saveexec_b32 s1, vcc_lo
	s_cbranch_execz .LBB0_17
; %bb.16:
	v_mul_f32_e32 v85, 0xbe903f40, v58
	v_mul_f32_e32 v86, 0x3f0a6770, v57
	;; [unrolled: 1-line block ×5, first 2 shown]
	v_fmamk_f32 v90, v71, 0xbf75a155, v85
	v_fmamk_f32 v94, v73, 0x3f575c64, v86
	v_mul_f32_e32 v102, 0x3f0a6770, v66
	v_fma_f32 v101, 0xbf75a155, v34, -v98
	v_mul_f32_e32 v105, 0xbf4178ce, v67
	v_add_f32_e32 v90, v17, v90
	v_mul_f32_e32 v88, 0xbf4178ce, v58
	v_fma_f32 v104, 0x3f575c64, v56, -v102
	v_add_f32_e32 v101, v16, v101
	v_fma_f32 v85, 0xbf75a155, v71, -v85
	v_add_f32_e32 v90, v94, v90
	v_fmamk_f32 v94, v74, 0xbf27a4f4, v95
	v_mul_f32_e32 v106, 0x3f68dda4, v68
	v_add_f32_e32 v101, v104, v101
	v_fma_f32 v104, 0xbf27a4f4, v59, -v105
	v_fmac_f32_e32 v98, 0xbf75a155, v34
	v_add_f32_e32 v90, v94, v90
	v_fmamk_f32 v94, v72, 0x3ed4b147, v99
	v_mul_f32_e32 v91, 0x3f7d64f0, v57
	v_add_f32_e32 v85, v17, v85
	v_fma_f32 v108, 0x3f575c64, v73, -v86
	v_add_f32_e32 v101, v104, v101
	v_add_f32_e32 v90, v94, v90
	v_mul_f32_e32 v94, 0xbf7d64f0, v64
	v_fma_f32 v104, 0x3ed4b147, v61, -v106
	v_add_f32_e32 v98, v16, v98
	v_fmac_f32_e32 v102, 0x3f575c64, v56
	v_sub_f32_e32 v79, v79, v88
	v_fmamk_f32 v107, v70, 0xbe11bafb, v94
	v_mul_f32_e32 v93, 0xbf0a6770, v60
	v_add_f32_e32 v85, v108, v85
	v_add_f32_e32 v98, v102, v98
	v_fmac_f32_e32 v105, 0xbf27a4f4, v59
	v_add_f32_e32 v86, v107, v90
	v_fma_f32 v90, 0xbf27a4f4, v74, -v95
	v_add_f32_e32 v95, v104, v101
	v_mul_f32_e32 v101, 0xbf7d64f0, v69
	v_add_f32_e32 v79, v17, v79
	v_sub_f32_e32 v81, v81, v91
	v_mul_f32_e32 v87, 0xbf27a4f4, v34
	v_mul_f32_e32 v97, 0xbe903f40, v62
	v_add_f32_e32 v85, v90, v85
	v_fma_f32 v90, 0x3ed4b147, v72, -v99
	v_fma_f32 v88, 0xbe11bafb, v63, -v101
	;; [unrolled: 1-line block ×3, first 2 shown]
	v_add_f32_e32 v94, v105, v98
	v_fmac_f32_e32 v106, 0x3ed4b147, v61
	v_add_f32_e32 v79, v81, v79
	v_sub_f32_e32 v81, v82, v93
	v_mul_f32_e32 v89, 0xbe11bafb, v56
	v_add_f32_e32 v90, v90, v85
	v_add_f32_e32 v85, v88, v95
	;; [unrolled: 1-line block ×4, first 2 shown]
	v_fmac_f32_e32 v101, 0xbe11bafb, v63
	v_add_f32_e32 v79, v81, v79
	v_sub_f32_e32 v84, v84, v97
	v_mul_f32_e32 v87, 0xbe11bafb, v71
	v_mul_f32_e32 v92, 0x3f575c64, v59
	;; [unrolled: 1-line block ×3, first 2 shown]
	v_add_f32_e32 v76, v16, v76
	v_add_f32_e32 v75, v89, v75
	v_add_f32_e32 v81, v101, v88
	v_add_f32_e32 v79, v84, v79
	v_fmamk_f32 v84, v58, 0x3f7d64f0, v87
	v_mul_f32_e32 v88, 0xbf75a155, v73
	v_mul_f32_e32 v96, 0xbf75a155, v61
	v_add_f32_e32 v75, v75, v76
	v_add_f32_e32 v76, v92, v77
	v_sub_f32_e32 v77, v83, v103
	v_add_f32_e32 v83, v17, v84
	v_fmamk_f32 v84, v57, 0xbe903f40, v88
	v_mul_f32_e32 v89, 0x3ed4b147, v74
	v_mul_f32_e32 v100, 0x3ed4b147, v63
	v_add_f32_e32 v75, v76, v75
	v_add_f32_e32 v78, v96, v78
	;; [unrolled: 1-line block ×4, first 2 shown]
	v_fmamk_f32 v79, v60, 0xbf68dda4, v89
	v_mul_f32_e32 v83, 0x3f575c64, v72
	v_add_f32_e32 v82, v91, v90
	v_add_f32_e32 v75, v78, v75
	;; [unrolled: 1-line block ×3, first 2 shown]
	v_mul_f32_e32 v84, 0xbf7d64f0, v65
	v_add_f32_e32 v77, v79, v77
	v_fmamk_f32 v79, v62, 0x3f0a6770, v83
	v_mul_f32_e32 v90, 0xbf27a4f4, v70
	v_add_f32_e32 v75, v78, v75
	v_fmamk_f32 v78, v34, 0xbe11bafb, v84
	;; [unrolled: 3-line block ×11, first 2 shown]
	v_mul_f32_e32 v71, 0x3f575c64, v71
	v_add_f32_e32 v77, v80, v79
	v_mul_f32_e32 v73, 0x3ed4b147, v73
	v_mul_f32_e32 v74, 0xbe11bafb, v74
	v_add_f32_e32 v80, v101, v96
	v_fmamk_f32 v96, v64, 0xbf0a6770, v102
	v_add_f32_e32 v19, v19, v17
	v_fmamk_f32 v106, v57, 0x3f68dda4, v73
	v_mul_f32_e32 v72, 0xbf27a4f4, v72
	v_add_f32_e32 v18, v18, v16
	v_add_f32_e32 v80, v96, v80
	v_fmamk_f32 v96, v58, 0x3f0a6770, v71
	v_add_f32_e32 v19, v23, v19
	v_mul_f32_e32 v100, 0xbf68dda4, v65
	v_fmamk_f32 v23, v62, 0x3f4178ce, v72
	v_mul_f32_e32 v65, 0xbf0a6770, v65
	v_add_f32_e32 v96, v17, v96
	v_add_f32_e32 v19, v25, v19
	v_add_f32_e32 v18, v22, v18
	v_mul_f32_e32 v25, 0xbf68dda4, v66
	v_fmac_f32_e32 v87, 0xbf7d64f0, v58
	v_add_f32_e32 v96, v106, v96
	v_fmamk_f32 v106, v60, 0x3f7d64f0, v74
	v_add_f32_e32 v19, v27, v19
	v_add_f32_e32 v18, v24, v18
	v_mul_f32_e32 v24, 0xbf75a155, v70
	v_fmamk_f32 v27, v56, 0x3ed4b147, v25
	v_add_f32_e32 v96, v106, v96
	v_add_f32_e32 v19, v29, v19
	;; [unrolled: 1-line block ×3, first 2 shown]
	v_mul_f32_e32 v26, 0xbf7d64f0, v67
	v_fmamk_f32 v29, v64, 0x3e903f40, v24
	v_add_f32_e32 v22, v23, v96
	v_fmamk_f32 v23, v34, 0x3f575c64, v65
	v_add_f32_e32 v18, v28, v18
	v_fmamk_f32 v28, v59, 0xbe11bafb, v26
	v_fmac_f32_e32 v88, 0x3e903f40, v57
	v_fmac_f32_e32 v89, 0x3f68dda4, v60
	v_add_f32_e32 v23, v16, v23
	v_add_f32_e32 v18, v30, v18
	v_fmac_f32_e32 v92, 0xbf68dda4, v58
	v_fmac_f32_e32 v83, 0xbf0a6770, v62
	;; [unrolled: 1-line block ×3, first 2 shown]
	v_add_f32_e32 v23, v27, v23
	v_add_f32_e32 v27, v31, v19
	v_mul_f32_e32 v31, 0xbf4178ce, v68
	v_add_f32_e32 v19, v29, v22
	v_add_f32_e32 v18, v32, v18
	;; [unrolled: 1-line block ×4, first 2 shown]
	v_fmamk_f32 v27, v61, 0xbf27a4f4, v31
	v_mul_f32_e32 v28, 0xbe903f40, v69
	v_add_f32_e32 v0, v0, v18
	v_fmac_f32_e32 v90, 0xbf4178ce, v64
	v_add_f32_e32 v1, v1, v22
	v_add_f32_e32 v22, v27, v23
	v_fmamk_f32 v23, v63, 0xbf75a155, v28
	v_add_f32_e32 v0, v2, v0
	v_fma_f32 v27, 0x3f575c64, v61, -v93
	v_add_f32_e32 v1, v3, v1
	v_add_f32_e32 v3, v17, v87
	;; [unrolled: 1-line block ×3, first 2 shown]
	v_fma_f32 v22, 0xbe11bafb, v34, -v84
	v_add_f32_e32 v23, v17, v92
	v_fmac_f32_e32 v97, 0x3e903f40, v60
	v_add_f32_e32 v2, v88, v3
	v_mul_f32_e32 v103, 0xbf4178ce, v66
	v_add_f32_e32 v3, v16, v22
	v_fma_f32 v22, 0xbf75a155, v56, -v91
	v_add_f32_e32 v23, v95, v23
	v_add_f32_e32 v2, v89, v2
	v_fmac_f32_e32 v99, 0x3f7d64f0, v62
	v_fmamk_f32 v79, v34, 0x3ed4b147, v100
	v_add_f32_e32 v3, v22, v3
	v_fma_f32 v22, 0x3ed4b147, v59, -v94
	v_add_f32_e32 v2, v83, v2
	v_add_f32_e32 v23, v97, v23
	v_mul_f32_e32 v104, 0x3e903f40, v67
	v_fma_f32 v30, 0xbf27a4f4, v56, -v103
	v_add_f32_e32 v22, v22, v3
	v_add_f32_e32 v3, v90, v2
	v_fma_f32 v2, 0x3ed4b147, v34, -v100
	v_fmac_f32_e32 v71, 0xbf0a6770, v58
	v_add_f32_e32 v79, v16, v79
	v_add_f32_e32 v22, v27, v22
	v_fma_f32 v27, 0xbf27a4f4, v63, -v98
	v_add_f32_e32 v29, v16, v2
	v_fmamk_f32 v101, v56, 0xbf27a4f4, v103
	v_mul_f32_e32 v105, 0x3f7d64f0, v68
	v_add_f32_e32 v17, v17, v71
	v_add_f32_e32 v2, v27, v22
	;; [unrolled: 1-line block ×3, first 2 shown]
	v_fma_f32 v23, 0x3f575c64, v34, -v65
	v_add_f32_e32 v27, v30, v29
	v_fma_f32 v29, 0xbf75a155, v59, -v104
	v_fmac_f32_e32 v73, 0xbf68dda4, v57
	v_add_f32_e32 v79, v101, v79
	v_add_f32_e32 v16, v16, v23
	v_fma_f32 v23, 0x3ed4b147, v56, -v25
	v_fmamk_f32 v101, v59, 0xbf75a155, v104
	v_add_f32_e32 v25, v29, v27
	v_fma_f32 v27, 0xbe11bafb, v61, -v105
	v_add_f32_e32 v17, v73, v17
	v_fmac_f32_e32 v74, 0xbf7d64f0, v60
	v_add_f32_e32 v16, v23, v16
	v_fma_f32 v23, 0xbe11bafb, v59, -v26
	v_add_f32_e32 v79, v101, v79
	v_fmamk_f32 v101, v61, 0xbe11bafb, v105
	v_mul_f32_e32 v107, 0x3f0a6770, v69
	v_add_f32_e32 v25, v27, v25
	v_add_f32_e32 v17, v74, v17
	v_fmac_f32_e32 v72, 0xbf4178ce, v62
	v_add_f32_e32 v16, v23, v16
	v_fma_f32 v23, 0xbf27a4f4, v61, -v31
	v_and_b32_e32 v27, 0xffff, v51
	v_add_f32_e32 v79, v101, v79
	v_fmamk_f32 v101, v63, 0x3f575c64, v107
	v_fmac_f32_e32 v102, 0x3f0a6770, v64
	v_fma_f32 v26, 0x3f575c64, v63, -v107
	v_add_f32_e32 v1, v37, v1
	v_add_f32_e32 v0, v36, v0
	;; [unrolled: 1-line block ×3, first 2 shown]
	v_fmac_f32_e32 v24, 0xbe903f40, v64
	v_add_f32_e32 v30, v23, v16
	v_fma_f32 v28, 0xbf75a155, v63, -v28
	v_lshl_add_u32 v27, v27, 3, v50
	v_add_f32_e32 v79, v101, v79
	v_add_f32_e32 v17, v102, v22
	v_add_f32_e32 v16, v26, v25
	v_add_f32_e32 v23, v24, v29
	v_add_f32_e32 v22, v28, v30
	ds_write2_b64 v27, v[0:1], v[18:19] offset1:1
	ds_write2_b64 v27, v[79:80], v[77:78] offset0:2 offset1:3
	ds_write2_b64 v27, v[75:76], v[81:82] offset0:4 offset1:5
	;; [unrolled: 1-line block ×4, first 2 shown]
	ds_write_b64 v27, v[22:23] offset:80
.LBB0_17:
	s_or_b32 exec_lo, exec_lo, s1
	s_waitcnt lgkmcnt(0)
	s_barrier
	buffer_gl0_inv
	ds_read2_b64 v[0:3], v53 offset1:22
	ds_read2_b64 v[16:19], v53 offset0:44 offset1:66
	ds_read2_b64 v[22:25], v53 offset0:88 offset1:110
	ds_read_b64 v[26:27], v53 offset:1056
	s_waitcnt lgkmcnt(0)
	s_barrier
	buffer_gl0_inv
	v_mul_f32_e32 v28, v13, v3
	v_mul_f32_e32 v13, v13, v2
	;; [unrolled: 1-line block ×12, first 2 shown]
	v_fmac_f32_e32 v28, v12, v2
	v_fma_f32 v2, v12, v3, -v13
	v_fmac_f32_e32 v29, v14, v16
	v_fma_f32 v3, v14, v17, -v15
	;; [unrolled: 2-line block ×6, first 2 shown]
	v_add_f32_e32 v5, v28, v33
	v_add_f32_e32 v9, v2, v6
	v_sub_f32_e32 v2, v2, v6
	v_add_f32_e32 v6, v29, v32
	v_add_f32_e32 v11, v3, v4
	v_sub_f32_e32 v12, v29, v32
	v_sub_f32_e32 v3, v3, v4
	v_add_f32_e32 v4, v30, v31
	v_add_f32_e32 v13, v8, v7
	v_sub_f32_e32 v14, v31, v30
	;; [unrolled: 4-line block ×3, first 2 shown]
	v_sub_f32_e32 v16, v6, v5
	v_sub_f32_e32 v17, v11, v9
	v_sub_f32_e32 v5, v5, v4
	v_sub_f32_e32 v9, v9, v13
	v_sub_f32_e32 v6, v4, v6
	v_sub_f32_e32 v11, v13, v11
	v_add_f32_e32 v18, v14, v12
	v_add_f32_e32 v19, v7, v3
	v_sub_f32_e32 v22, v14, v12
	v_sub_f32_e32 v23, v7, v3
	v_add_f32_e32 v4, v4, v8
	v_add_f32_e32 v8, v13, v15
	v_sub_f32_e32 v12, v12, v10
	v_sub_f32_e32 v3, v3, v2
	;; [unrolled: 1-line block ×4, first 2 shown]
	v_add_f32_e32 v10, v18, v10
	v_add_f32_e32 v2, v19, v2
	;; [unrolled: 1-line block ×4, first 2 shown]
	v_mul_f32_e32 v5, 0x3f4a47b2, v5
	v_mul_f32_e32 v9, 0x3f4a47b2, v9
	;; [unrolled: 1-line block ×8, first 2 shown]
	v_fmamk_f32 v4, v4, 0xbf955555, v0
	v_fmamk_f32 v8, v8, 0xbf955555, v1
	;; [unrolled: 1-line block ×4, first 2 shown]
	v_fma_f32 v13, 0x3f3bfb3b, v16, -v13
	v_fma_f32 v15, 0x3f3bfb3b, v17, -v15
	;; [unrolled: 1-line block ×4, first 2 shown]
	v_fmamk_f32 v16, v14, 0xbeae86e6, v18
	v_fmamk_f32 v17, v7, 0xbeae86e6, v19
	v_fma_f32 v12, 0xbf5ff5aa, v12, -v18
	v_fma_f32 v18, 0xbf5ff5aa, v3, -v19
	;; [unrolled: 1-line block ×4, first 2 shown]
	v_add_f32_e32 v22, v6, v4
	v_add_f32_e32 v23, v11, v8
	v_fmac_f32_e32 v16, 0xbee1c552, v10
	v_fmac_f32_e32 v17, 0xbee1c552, v2
	v_add_f32_e32 v11, v13, v4
	v_add_f32_e32 v13, v15, v8
	;; [unrolled: 1-line block ×4, first 2 shown]
	v_fmac_f32_e32 v12, 0xbee1c552, v10
	v_fmac_f32_e32 v19, 0xbee1c552, v2
	;; [unrolled: 1-line block ×4, first 2 shown]
	v_add_f32_e32 v2, v17, v22
	v_sub_f32_e32 v3, v23, v16
	v_add_f32_e32 v4, v19, v15
	v_sub_f32_e32 v5, v24, v14
	v_sub_f32_e32 v6, v11, v18
	v_add_f32_e32 v7, v12, v13
	v_add_f32_e32 v8, v18, v11
	v_sub_f32_e32 v9, v13, v12
	v_sub_f32_e32 v10, v15, v19
	v_add_f32_e32 v11, v14, v24
	v_sub_f32_e32 v18, v22, v17
	v_add_f32_e32 v19, v16, v23
	ds_write2_b64 v54, v[0:1], v[2:3] offset1:11
	ds_write2_b64 v54, v[4:5], v[6:7] offset0:22 offset1:33
	ds_write2_b64 v54, v[8:9], v[10:11] offset0:44 offset1:55
	ds_write_b64 v54, v[18:19] offset:528
	s_waitcnt lgkmcnt(0)
	s_barrier
	buffer_gl0_inv
	ds_read2_b64 v[0:3], v53 offset1:22
	ds_read2_b64 v[4:7], v53 offset0:44 offset1:77
	ds_read2_b64 v[8:11], v53 offset0:99 offset1:121
	v_add_nc_u32_e32 v12, 0x160, v55
	s_and_saveexec_b32 s1, s0
	s_cbranch_execz .LBB0_19
; %bb.18:
	ds_read2_b64 v[18:21], v53 offset0:66 offset1:143
.LBB0_19:
	s_or_b32 exec_lo, exec_lo, s1
	s_waitcnt lgkmcnt(1)
	v_mul_f32_e32 v13, v41, v7
	v_mul_f32_e32 v14, v41, v6
	s_waitcnt lgkmcnt(0)
	v_mul_f32_e32 v15, v45, v9
	v_mul_f32_e32 v16, v45, v8
	;; [unrolled: 1-line block ×4, first 2 shown]
	v_fmac_f32_e32 v13, v40, v6
	v_fma_f32 v7, v40, v7, -v14
	v_fmac_f32_e32 v15, v44, v8
	v_fma_f32 v9, v44, v9, -v16
	;; [unrolled: 2-line block ×3, first 2 shown]
	v_sub_f32_e32 v6, v0, v13
	v_sub_f32_e32 v7, v1, v7
	;; [unrolled: 1-line block ×6, first 2 shown]
	v_fma_f32 v0, v0, 2.0, -v6
	v_fma_f32 v1, v1, 2.0, -v7
	;; [unrolled: 1-line block ×6, first 2 shown]
	ds_write2_b64 v52, v[0:1], v[2:3] offset1:22
	ds_write_b64 v52, v[8:9] offset:792
	ds_write2_b64 v52, v[4:5], v[6:7] offset0:44 offset1:77
	ds_write_b64 v12, v[10:11] offset:616
	s_and_saveexec_b32 s1, s0
	s_cbranch_execz .LBB0_21
; %bb.20:
	v_mul_f32_e32 v0, v39, v20
	v_mul_f32_e32 v2, v39, v21
	v_fma_f32 v0, v38, v21, -v0
	v_fmac_f32_e32 v2, v38, v20
	v_sub_f32_e32 v1, v19, v0
	v_sub_f32_e32 v0, v18, v2
	v_fma_f32 v3, v19, 2.0, -v1
	v_fma_f32 v2, v18, 2.0, -v0
	ds_write2_b64 v52, v[2:3], v[0:1] offset0:66 offset1:143
.LBB0_21:
	s_or_b32 exec_lo, exec_lo, s1
	s_waitcnt lgkmcnt(0)
	s_barrier
	buffer_gl0_inv
	s_and_b32 exec_lo, exec_lo, vcc_lo
	s_cbranch_execz .LBB0_23
; %bb.22:
	s_clause 0xa
	global_load_dwordx2 v[20:21], v48, s[14:15]
	global_load_dwordx2 v[22:23], v48, s[14:15] offset:112
	global_load_dwordx2 v[24:25], v48, s[14:15] offset:224
	;; [unrolled: 1-line block ×10, first 2 shown]
	v_mad_u64_u32 v[0:1], null, s6, v35, 0
	v_mad_u64_u32 v[2:3], null, s4, v49, 0
	s_mul_i32 s0, s5, 0x70
	s_mul_hi_u32 s1, s4, 0x70
	s_mul_i32 s2, s4, 0x70
	s_add_i32 s3, s1, s0
	v_mad_u64_u32 v[57:58], null, s4, v46, 0
	v_mad_u64_u32 v[4:5], null, s7, v35, v[1:2]
	v_lshl_add_u32 v18, v47, 3, v48
	ds_read_b64 v[51:52], v52
	s_mov_b32 s0, 0x606a63be
	s_mov_b32 s1, 0x3f7a98ef
	v_mad_u64_u32 v[5:6], null, s5, v49, v[3:4]
	v_mov_b32_e32 v1, v4
	v_mov_b32_e32 v4, v58
	v_lshlrev_b64 v[0:1], 3, v[0:1]
	v_mov_b32_e32 v3, v5
	v_mad_u64_u32 v[16:17], null, s5, v46, v[4:5]
	v_lshlrev_b64 v[2:3], 3, v[2:3]
	v_add_co_u32 v66, vcc_lo, s12, v0
	v_add_co_ci_u32_e32 v67, vcc_lo, s13, v1, vcc_lo
	v_mov_b32_e32 v58, v16
	v_add_co_u32 v34, vcc_lo, v66, v2
	v_add_co_ci_u32_e32 v35, vcc_lo, v67, v3, vcc_lo
	ds_read2_b64 v[0:3], v18 offset0:14 offset1:28
	v_add_co_u32 v44, vcc_lo, v34, s2
	v_add_co_ci_u32_e32 v45, vcc_lo, s3, v35, vcc_lo
	ds_read2_b64 v[4:7], v18 offset0:42 offset1:56
	ds_read2_b64 v[8:11], v18 offset0:70 offset1:84
	;; [unrolled: 1-line block ×3, first 2 shown]
	v_add_co_u32 v49, vcc_lo, v44, s2
	v_add_co_ci_u32_e32 v50, vcc_lo, s3, v45, vcc_lo
	ds_read2_b64 v[16:19], v18 offset0:126 offset1:140
	v_add_co_u32 v53, vcc_lo, v49, s2
	v_add_co_ci_u32_e32 v54, vcc_lo, s3, v50, vcc_lo
	v_lshlrev_b64 v[57:58], 3, v[57:58]
	v_add_co_u32 v55, vcc_lo, v53, s2
	v_add_co_ci_u32_e32 v56, vcc_lo, s3, v54, vcc_lo
	v_add_co_u32 v59, vcc_lo, v55, s2
	v_add_co_ci_u32_e32 v60, vcc_lo, s3, v56, vcc_lo
	;; [unrolled: 2-line block ×4, first 2 shown]
	v_mad_u64_u32 v[63:64], null, 0xe0, s4, v[61:62]
	v_mov_b32_e32 v46, v64
	v_mad_u64_u32 v[64:65], null, 0xe0, s5, v[46:47]
	s_waitcnt vmcnt(10) lgkmcnt(5)
	v_mul_f32_e32 v46, v52, v21
	v_mul_f32_e32 v21, v51, v21
	s_waitcnt vmcnt(9) lgkmcnt(4)
	v_mul_f32_e32 v65, v1, v23
	v_mul_f32_e32 v23, v0, v23
	s_waitcnt vmcnt(8)
	v_mul_f32_e32 v68, v3, v25
	v_mul_f32_e32 v25, v2, v25
	s_waitcnt vmcnt(7) lgkmcnt(3)
	v_mul_f32_e32 v69, v5, v27
	v_mul_f32_e32 v27, v4, v27
	s_waitcnt vmcnt(6)
	v_mul_f32_e32 v70, v7, v29
	v_mul_f32_e32 v29, v6, v29
	s_waitcnt vmcnt(5) lgkmcnt(2)
	v_mul_f32_e32 v71, v9, v31
	v_mul_f32_e32 v31, v8, v31
	v_fmac_f32_e32 v46, v51, v20
	v_fma_f32 v20, v20, v52, -v21
	s_waitcnt vmcnt(4)
	v_mul_f32_e32 v72, v11, v33
	v_mul_f32_e32 v33, v10, v33
	v_fmac_f32_e32 v65, v0, v22
	v_fma_f32 v21, v22, v1, -v23
	s_waitcnt vmcnt(3) lgkmcnt(1)
	v_mul_f32_e32 v73, v13, v37
	v_mul_f32_e32 v37, v12, v37
	v_fmac_f32_e32 v68, v2, v24
	v_fma_f32 v22, v24, v3, -v25
	s_waitcnt vmcnt(2)
	v_mul_f32_e32 v74, v15, v39
	v_mul_f32_e32 v39, v14, v39
	v_fmac_f32_e32 v69, v4, v26
	v_fma_f32 v23, v26, v5, -v27
	s_waitcnt vmcnt(1) lgkmcnt(0)
	v_mul_f32_e32 v75, v17, v41
	v_mul_f32_e32 v41, v16, v41
	s_waitcnt vmcnt(0)
	v_mul_f32_e32 v76, v19, v43
	v_mul_f32_e32 v43, v18, v43
	v_fmac_f32_e32 v70, v6, v28
	v_fma_f32 v24, v28, v7, -v29
	v_fmac_f32_e32 v71, v8, v30
	v_fma_f32 v25, v30, v9, -v31
	v_cvt_f64_f32_e32 v[0:1], v46
	v_cvt_f64_f32_e32 v[2:3], v20
	v_fmac_f32_e32 v72, v10, v32
	v_fma_f32 v26, v32, v11, -v33
	v_cvt_f64_f32_e32 v[4:5], v65
	v_cvt_f64_f32_e32 v[6:7], v21
	;; [unrolled: 4-line block ×4, first 2 shown]
	v_fmac_f32_e32 v75, v16, v40
	v_fma_f32 v40, v40, v17, -v41
	v_fmac_f32_e32 v76, v18, v42
	v_fma_f32 v51, v42, v19, -v43
	v_cvt_f64_f32_e32 v[16:17], v70
	v_cvt_f64_f32_e32 v[18:19], v24
	;; [unrolled: 1-line block ×14, first 2 shown]
	v_mul_f64 v[0:1], v[0:1], s[0:1]
	v_mul_f64 v[2:3], v[2:3], s[0:1]
	;; [unrolled: 1-line block ×22, first 2 shown]
	v_cvt_f32_f64_e32 v0, v[0:1]
	v_cvt_f32_f64_e32 v1, v[2:3]
	;; [unrolled: 1-line block ×22, first 2 shown]
	v_add_co_u32 v22, vcc_lo, v66, v57
	v_add_co_ci_u32_e32 v23, vcc_lo, v67, v58, vcc_lo
	v_add_co_u32 v24, vcc_lo, v63, s2
	v_add_co_ci_u32_e32 v25, vcc_lo, s3, v64, vcc_lo
	global_store_dwordx2 v[34:35], v[0:1], off
	global_store_dwordx2 v[44:45], v[2:3], off
	;; [unrolled: 1-line block ×11, first 2 shown]
.LBB0_23:
	s_endpgm
	.section	.rodata,"a",@progbits
	.p2align	6, 0x0
	.amdhsa_kernel bluestein_single_fwd_len154_dim1_sp_op_CI_CI
		.amdhsa_group_segment_fixed_size 6160
		.amdhsa_private_segment_fixed_size 0
		.amdhsa_kernarg_size 104
		.amdhsa_user_sgpr_count 6
		.amdhsa_user_sgpr_private_segment_buffer 1
		.amdhsa_user_sgpr_dispatch_ptr 0
		.amdhsa_user_sgpr_queue_ptr 0
		.amdhsa_user_sgpr_kernarg_segment_ptr 1
		.amdhsa_user_sgpr_dispatch_id 0
		.amdhsa_user_sgpr_flat_scratch_init 0
		.amdhsa_user_sgpr_private_segment_size 0
		.amdhsa_wavefront_size32 1
		.amdhsa_uses_dynamic_stack 0
		.amdhsa_system_sgpr_private_segment_wavefront_offset 0
		.amdhsa_system_sgpr_workgroup_id_x 1
		.amdhsa_system_sgpr_workgroup_id_y 0
		.amdhsa_system_sgpr_workgroup_id_z 0
		.amdhsa_system_sgpr_workgroup_info 0
		.amdhsa_system_vgpr_workitem_id 0
		.amdhsa_next_free_vgpr 113
		.amdhsa_next_free_sgpr 16
		.amdhsa_reserve_vcc 1
		.amdhsa_reserve_flat_scratch 0
		.amdhsa_float_round_mode_32 0
		.amdhsa_float_round_mode_16_64 0
		.amdhsa_float_denorm_mode_32 3
		.amdhsa_float_denorm_mode_16_64 3
		.amdhsa_dx10_clamp 1
		.amdhsa_ieee_mode 1
		.amdhsa_fp16_overflow 0
		.amdhsa_workgroup_processor_mode 1
		.amdhsa_memory_ordered 1
		.amdhsa_forward_progress 0
		.amdhsa_shared_vgpr_count 0
		.amdhsa_exception_fp_ieee_invalid_op 0
		.amdhsa_exception_fp_denorm_src 0
		.amdhsa_exception_fp_ieee_div_zero 0
		.amdhsa_exception_fp_ieee_overflow 0
		.amdhsa_exception_fp_ieee_underflow 0
		.amdhsa_exception_fp_ieee_inexact 0
		.amdhsa_exception_int_div_zero 0
	.end_amdhsa_kernel
	.text
.Lfunc_end0:
	.size	bluestein_single_fwd_len154_dim1_sp_op_CI_CI, .Lfunc_end0-bluestein_single_fwd_len154_dim1_sp_op_CI_CI
                                        ; -- End function
	.section	.AMDGPU.csdata,"",@progbits
; Kernel info:
; codeLenInByte = 9204
; NumSgprs: 18
; NumVgprs: 113
; ScratchSize: 0
; MemoryBound: 0
; FloatMode: 240
; IeeeMode: 1
; LDSByteSize: 6160 bytes/workgroup (compile time only)
; SGPRBlocks: 2
; VGPRBlocks: 14
; NumSGPRsForWavesPerEU: 18
; NumVGPRsForWavesPerEU: 113
; Occupancy: 8
; WaveLimiterHint : 1
; COMPUTE_PGM_RSRC2:SCRATCH_EN: 0
; COMPUTE_PGM_RSRC2:USER_SGPR: 6
; COMPUTE_PGM_RSRC2:TRAP_HANDLER: 0
; COMPUTE_PGM_RSRC2:TGID_X_EN: 1
; COMPUTE_PGM_RSRC2:TGID_Y_EN: 0
; COMPUTE_PGM_RSRC2:TGID_Z_EN: 0
; COMPUTE_PGM_RSRC2:TIDIG_COMP_CNT: 0
	.text
	.p2alignl 6, 3214868480
	.fill 48, 4, 3214868480
	.type	__hip_cuid_79b7baa67d2fb019,@object ; @__hip_cuid_79b7baa67d2fb019
	.section	.bss,"aw",@nobits
	.globl	__hip_cuid_79b7baa67d2fb019
__hip_cuid_79b7baa67d2fb019:
	.byte	0                               ; 0x0
	.size	__hip_cuid_79b7baa67d2fb019, 1

	.ident	"AMD clang version 19.0.0git (https://github.com/RadeonOpenCompute/llvm-project roc-6.4.0 25133 c7fe45cf4b819c5991fe208aaa96edf142730f1d)"
	.section	".note.GNU-stack","",@progbits
	.addrsig
	.addrsig_sym __hip_cuid_79b7baa67d2fb019
	.amdgpu_metadata
---
amdhsa.kernels:
  - .args:
      - .actual_access:  read_only
        .address_space:  global
        .offset:         0
        .size:           8
        .value_kind:     global_buffer
      - .actual_access:  read_only
        .address_space:  global
        .offset:         8
        .size:           8
        .value_kind:     global_buffer
      - .actual_access:  read_only
        .address_space:  global
        .offset:         16
        .size:           8
        .value_kind:     global_buffer
      - .actual_access:  read_only
        .address_space:  global
        .offset:         24
        .size:           8
        .value_kind:     global_buffer
      - .actual_access:  read_only
        .address_space:  global
        .offset:         32
        .size:           8
        .value_kind:     global_buffer
      - .offset:         40
        .size:           8
        .value_kind:     by_value
      - .address_space:  global
        .offset:         48
        .size:           8
        .value_kind:     global_buffer
      - .address_space:  global
        .offset:         56
        .size:           8
        .value_kind:     global_buffer
      - .address_space:  global
        .offset:         64
        .size:           8
        .value_kind:     global_buffer
      - .address_space:  global
        .offset:         72
        .size:           8
        .value_kind:     global_buffer
      - .offset:         80
        .size:           4
        .value_kind:     by_value
      - .address_space:  global
        .offset:         88
        .size:           8
        .value_kind:     global_buffer
      - .address_space:  global
        .offset:         96
        .size:           8
        .value_kind:     global_buffer
    .group_segment_fixed_size: 6160
    .kernarg_segment_align: 8
    .kernarg_segment_size: 104
    .language:       OpenCL C
    .language_version:
      - 2
      - 0
    .max_flat_workgroup_size: 110
    .name:           bluestein_single_fwd_len154_dim1_sp_op_CI_CI
    .private_segment_fixed_size: 0
    .sgpr_count:     18
    .sgpr_spill_count: 0
    .symbol:         bluestein_single_fwd_len154_dim1_sp_op_CI_CI.kd
    .uniform_work_group_size: 1
    .uses_dynamic_stack: false
    .vgpr_count:     113
    .vgpr_spill_count: 0
    .wavefront_size: 32
    .workgroup_processor_mode: 1
amdhsa.target:   amdgcn-amd-amdhsa--gfx1030
amdhsa.version:
  - 1
  - 2
...

	.end_amdgpu_metadata
